;; amdgpu-corpus repo=ROCm/MIOpen kind=compiled arch=gfx1030 opt=O3
	.amdgcn_target "amdgcn-amd-amdhsa--gfx1030"
	.amdhsa_code_object_version 6
	.text
	.protected	gridwise_generic_reduce_1_prepare ; -- Begin function gridwise_generic_reduce_1_prepare
	.globl	gridwise_generic_reduce_1_prepare
	.p2align	8
	.type	gridwise_generic_reduce_1_prepare,@function
gridwise_generic_reduce_1_prepare:      ; @gridwise_generic_reduce_1_prepare
; %bb.0:
	s_mov_b32 s0, exec_lo
	v_cmpx_eq_u32_e32 0, v0
	s_cbranch_execz .LBB0_2
; %bb.1:
	s_clause 0x3
	s_load_dwordx4 s[0:3], s[4:5], 0x8
	s_load_dwordx4 s[8:11], s[4:5], 0x20
	s_load_dwordx2 s[12:13], s[4:5], 0x38
	s_load_dwordx2 s[14:15], s[4:5], 0x50
	v_mov_b32_e32 v15, 0
	s_waitcnt lgkmcnt(0)
	s_add_i32 s16, s0, -1
	s_add_i32 s17, s1, -1
	v_mov_b32_e32 v4, s8
	s_add_i32 s19, s2, -1
	v_mov_b32_e32 v5, s9
	v_mov_b32_e32 v6, s10
	;; [unrolled: 1-line block ×3, first 2 shown]
	s_mul_i32 s8, s8, s16
	s_mul_i32 s9, s9, s17
	s_mov_b32 s6, s1
	s_add_i32 s20, s3, -1
	s_mov_b32 s4, s0
	s_mov_b32 s5, s1
	s_mul_i32 s10, s10, s19
	s_add_i32 s8, s8, s9
	v_mov_b32_e32 v14, s6
	v_mov_b32_e32 v0, s0
	;; [unrolled: 1-line block ×3, first 2 shown]
	s_mul_i32 s11, s11, s20
	v_mov_b32_e32 v13, s5
	v_mov_b32_e32 v12, s4
	s_add_i32 s4, s8, s10
	s_mul_i32 s18, s3, s2
	v_mov_b32_e32 v1, s1
	v_mov_b32_e32 v2, s2
	v_mov_b32_e32 v3, s3
	s_mul_i32 s3, s12, s16
	s_mul_i32 s21, s13, s17
	;; [unrolled: 1-line block ×3, first 2 shown]
	s_add_i32 s4, s4, s11
	s_add_i32 s3, s3, s21
	s_mul_i32 s22, s18, s7
	s_add_i32 s4, s4, 1
	s_add_i32 s5, s3, 1
	v_mov_b32_e32 v8, s7
	v_mov_b32_e32 v9, s2
	;; [unrolled: 1-line block ×3, first 2 shown]
	s_mov_b32 s2, s12
	s_mov_b32 s3, s13
	global_store_dwordx4 v15, v[0:3], s[14:15]
	global_store_dwordx4 v15, v[4:7], s[14:15] offset:16
	global_store_dwordx3 v15, v[12:14], s[14:15] offset:32
	global_store_byte v15, v15, s[14:15] offset:44
	global_store_dwordx4 v15, v[8:11], s[14:15] offset:48
	v_mov_b32_e32 v4, s18
	v_mov_b32_e32 v5, s22
	;; [unrolled: 1-line block ×10, first 2 shown]
	global_store_byte v15, v15, s[14:15] offset:64
	global_store_dwordx3 v15, v[4:6], s[14:15] offset:68
	global_store_dwordx4 v7, v[0:3], s[14:15]
	global_store_dwordx3 v7, v[12:14], s[14:15] offset:16
	global_store_byte v7, v15, s[14:15] offset:28
	global_store_dwordx3 v7, v[8:10], s[14:15] offset:32
.LBB0_2:
	s_endpgm
	.section	.rodata,"a",@progbits
	.p2align	6, 0x0
	.amdhsa_kernel gridwise_generic_reduce_1_prepare
		.amdhsa_group_segment_fixed_size 0
		.amdhsa_private_segment_fixed_size 0
		.amdhsa_kernarg_size 88
		.amdhsa_user_sgpr_count 6
		.amdhsa_user_sgpr_private_segment_buffer 1
		.amdhsa_user_sgpr_dispatch_ptr 0
		.amdhsa_user_sgpr_queue_ptr 0
		.amdhsa_user_sgpr_kernarg_segment_ptr 1
		.amdhsa_user_sgpr_dispatch_id 0
		.amdhsa_user_sgpr_flat_scratch_init 0
		.amdhsa_user_sgpr_private_segment_size 0
		.amdhsa_wavefront_size32 1
		.amdhsa_uses_dynamic_stack 0
		.amdhsa_system_sgpr_private_segment_wavefront_offset 0
		.amdhsa_system_sgpr_workgroup_id_x 1
		.amdhsa_system_sgpr_workgroup_id_y 0
		.amdhsa_system_sgpr_workgroup_id_z 0
		.amdhsa_system_sgpr_workgroup_info 0
		.amdhsa_system_vgpr_workitem_id 0
		.amdhsa_next_free_vgpr 16
		.amdhsa_next_free_sgpr 23
		.amdhsa_reserve_vcc 0
		.amdhsa_reserve_flat_scratch 0
		.amdhsa_float_round_mode_32 0
		.amdhsa_float_round_mode_16_64 0
		.amdhsa_float_denorm_mode_32 3
		.amdhsa_float_denorm_mode_16_64 3
		.amdhsa_dx10_clamp 1
		.amdhsa_ieee_mode 1
		.amdhsa_fp16_overflow 0
		.amdhsa_workgroup_processor_mode 1
		.amdhsa_memory_ordered 1
		.amdhsa_forward_progress 1
		.amdhsa_shared_vgpr_count 0
		.amdhsa_exception_fp_ieee_invalid_op 0
		.amdhsa_exception_fp_denorm_src 0
		.amdhsa_exception_fp_ieee_div_zero 0
		.amdhsa_exception_fp_ieee_overflow 0
		.amdhsa_exception_fp_ieee_underflow 0
		.amdhsa_exception_fp_ieee_inexact 0
		.amdhsa_exception_int_div_zero 0
	.end_amdhsa_kernel
	.text
.Lfunc_end0:
	.size	gridwise_generic_reduce_1_prepare, .Lfunc_end0-gridwise_generic_reduce_1_prepare
                                        ; -- End function
	.set gridwise_generic_reduce_1_prepare.num_vgpr, 16
	.set gridwise_generic_reduce_1_prepare.num_agpr, 0
	.set gridwise_generic_reduce_1_prepare.numbered_sgpr, 23
	.set gridwise_generic_reduce_1_prepare.num_named_barrier, 0
	.set gridwise_generic_reduce_1_prepare.private_seg_size, 0
	.set gridwise_generic_reduce_1_prepare.uses_vcc, 0
	.set gridwise_generic_reduce_1_prepare.uses_flat_scratch, 0
	.set gridwise_generic_reduce_1_prepare.has_dyn_sized_stack, 0
	.set gridwise_generic_reduce_1_prepare.has_recursion, 0
	.set gridwise_generic_reduce_1_prepare.has_indirect_call, 0
	.section	.AMDGPU.csdata,"",@progbits
; Kernel info:
; codeLenInByte = 348
; TotalNumSgprs: 23
; NumVgprs: 16
; ScratchSize: 0
; MemoryBound: 0
; FloatMode: 240
; IeeeMode: 1
; LDSByteSize: 0 bytes/workgroup (compile time only)
; SGPRBlocks: 0
; VGPRBlocks: 1
; NumSGPRsForWavesPerEU: 23
; NumVGPRsForWavesPerEU: 16
; Occupancy: 16
; WaveLimiterHint : 1
; COMPUTE_PGM_RSRC2:SCRATCH_EN: 0
; COMPUTE_PGM_RSRC2:USER_SGPR: 6
; COMPUTE_PGM_RSRC2:TRAP_HANDLER: 0
; COMPUTE_PGM_RSRC2:TGID_X_EN: 1
; COMPUTE_PGM_RSRC2:TGID_Y_EN: 0
; COMPUTE_PGM_RSRC2:TGID_Z_EN: 0
; COMPUTE_PGM_RSRC2:TIDIG_COMP_CNT: 0
	.text
	.protected	gridwise_generic_reduce_1 ; -- Begin function gridwise_generic_reduce_1
	.globl	gridwise_generic_reduce_1
	.p2align	8
	.type	gridwise_generic_reduce_1,@function
gridwise_generic_reduce_1:              ; @gridwise_generic_reduce_1
; %bb.0:
	s_load_dwordx2 s[16:17], s[4:5], 0x28
	v_lshl_add_u32 v2, s6, 8, v0
	s_mov_b32 s6, 0
	v_ashrrev_i32_e32 v4, 31, v2
	v_sub_nc_u32_e32 v6, 0, v2
	s_waitcnt lgkmcnt(0)
	s_load_dword s7, s[16:17], 0x44
	s_waitcnt lgkmcnt(0)
	s_cmp_gt_i32 s7, 0
	s_cbranch_scc1 .LBB1_2
; %bb.1:
	v_ashrrev_i32_e32 v0, 31, v2
	v_max_i32_e32 v3, v2, v6
	v_mov_b32_e32 v5, 0
	s_branch .LBB1_3
.LBB1_2:
	s_mov_b32 s6, -1
                                        ; implicit-def: $vgpr0
                                        ; implicit-def: $vgpr3
                                        ; implicit-def: $vgpr5
.LBB1_3:
	s_load_dwordx2 s[0:1], s[4:5], 0x20
	s_load_dwordx2 s[2:3], s[16:17], 0x808
	v_mov_b32_e32 v1, 0
	s_andn2_b32 vcc_lo, exec_lo, s6
	s_cbranch_vccnz .LBB1_7
; %bb.4:
	s_clause 0x1
	s_load_dword s6, s[16:17], 0x28
	s_load_dword s14, s[16:17], 0x4c
	v_max_i32_e32 v3, v2, v6
	s_mov_b32 s22, 0
	s_load_dwordx2 s[20:21], s[16:17], 0x38
	s_waitcnt lgkmcnt(0)
	s_abs_i32 s12, s6
	s_ashr_i32 s13, s6, 31
	v_cvt_f32_u32_e32 v0, s12
	s_sub_i32 s8, 0, s12
	s_lshl_b32 s14, s14, 2
	s_add_i32 s15, s21, 1
	v_rcp_iflag_f32_e32 v0, v0
	s_cmp_lt_u32 s15, 3
	s_mov_b32 s15, 0x20000
	v_mul_f32_e32 v0, 0x4f7ffffe, v0
	v_cvt_u32_f32_e32 v0, v0
	v_mul_lo_u32 v1, s8, v0
	s_load_dwordx4 s[8:11], s[16:17], 0x10
	v_mul_hi_u32 v1, v0, v1
	v_add_nc_u32_e32 v0, v0, v1
	v_mul_hi_u32 v0, v3, v0
	v_mul_lo_u32 v1, v0, s12
	v_add_nc_u32_e32 v5, 1, v0
	v_sub_nc_u32_e32 v1, v3, v1
	v_subrev_nc_u32_e32 v6, s12, v1
	v_cmp_le_u32_e32 vcc_lo, s12, v1
	v_cndmask_b32_e32 v0, v0, v5, vcc_lo
	v_cndmask_b32_e32 v1, v1, v6, vcc_lo
	v_xor_b32_e32 v6, s13, v4
	v_add_nc_u32_e32 v5, 1, v0
	v_cmp_le_u32_e32 vcc_lo, s12, v1
	s_load_dwordx2 s[12:13], s[4:5], 0x10
	v_cndmask_b32_e32 v0, v0, v5, vcc_lo
	v_mov_b32_e32 v5, 0
	v_xor_b32_e32 v0, v0, v6
	v_sub_nc_u32_e32 v0, v0, v6
	v_mul_lo_u32 v1, v0, s6
	s_waitcnt lgkmcnt(0)
	v_mul_lo_u32 v0, v0, s8
	s_cselect_b32 s8, s21, 0
	s_mov_b32 s6, 0
	s_mul_i32 s18, s8, s21
	v_sub_nc_u32_e32 v1, v2, v1
	v_mad_u64_u32 v[0:1], null, v1, s9, v[0:1]
	s_sub_i32 s9, 1, s18
	v_mov_b32_e32 v1, v5
	s_sub_i32 s19, s20, s9
	s_add_i32 s18, s18, -1
	s_add_i32 s20, s9, s20
	s_sub_i32 s21, 0, s19
.LBB1_5:                                ; =>This Inner Loop Header: Depth=1
	s_cmp_ge_i32 s22, s19
	v_lshlrev_b32_e32 v6, 2, v0
	s_cselect_b32 s23, -1, 0
	v_cndmask_b32_e64 v7, 0, 1, s23
	s_and_b32 s23, s23, exec_lo
	s_cselect_b32 s23, s21, s9
	s_cmp_lt_i32 s22, s18
	buffer_load_dword v6, v6, s[12:15], 0 offen
	s_cselect_b32 s24, -1, 0
	s_cselect_b32 s23, s20, s23
	v_cndmask_b32_e64 v7, v7, -1, s24
	s_add_i32 s22, s23, s22
	s_mul_i32 s23, s23, s11
	s_cmp_ge_i32 s22, s19
	v_add_nc_u32_e32 v7, s8, v7
	s_cselect_b32 s24, -1, 0
	v_cndmask_b32_e64 v8, 0, 1, s24
	s_and_b32 s24, s24, exec_lo
	s_cselect_b32 s24, s21, s9
	s_cmp_lt_i32 s22, s18
	v_mul_lo_u32 v7, v7, s10
	s_cselect_b32 s24, s20, s24
	s_cselect_b32 s25, -1, 0
	s_add_i32 s22, s24, s22
	v_cndmask_b32_e64 v8, v8, -1, s25
	s_cmp_ge_i32 s22, s19
	s_mul_i32 s24, s24, s11
	s_cselect_b32 s25, -1, 0
	v_add3_u32 v0, v7, s23, v0
	v_add_nc_u32_e32 v8, s8, v8
	v_cndmask_b32_e64 v9, 0, 1, s25
	s_and_b32 s23, s25, exec_lo
	s_cselect_b32 s23, s21, s9
	s_cmp_lt_i32 s22, s18
	v_mul_lo_u32 v7, v8, s10
	s_cselect_b32 s25, -1, 0
	s_cselect_b32 s23, s20, s23
	v_cndmask_b32_e64 v8, v9, -1, s25
	s_add_i32 s22, s23, s22
	v_lshlrev_b32_e32 v9, 2, v0
	s_cmp_ge_i32 s22, s19
	s_mul_i32 s23, s23, s11
	v_add_nc_u32_e32 v8, s8, v8
	s_cselect_b32 s25, -1, 0
	v_add3_u32 v0, v7, s24, v0
	s_and_b32 s24, s25, exec_lo
	s_cselect_b32 s24, s21, s9
	s_cmp_lt_i32 s22, s18
	v_mul_lo_u32 v7, v8, s10
	s_cselect_b32 s24, s20, s24
	v_cndmask_b32_e64 v10, 0, 1, s25
	s_cselect_b32 s25, -1, 0
	s_add_i32 s22, s24, s22
	s_mul_i32 s24, s24, s11
	s_cmp_ge_i32 s22, s19
	v_cndmask_b32_e64 v8, v10, -1, s25
	s_cselect_b32 s25, -1, 0
	v_lshlrev_b32_e32 v10, 2, v0
	v_add3_u32 v0, v7, s23, v0
	s_and_b32 s23, s25, exec_lo
	s_cselect_b32 s23, s21, s9
	s_cmp_lt_i32 s22, s18
	v_add_nc_u32_e32 v8, s8, v8
	s_cselect_b32 s23, s20, s23
	v_cndmask_b32_e64 v11, 0, 1, s25
	s_cselect_b32 s25, -1, 0
	s_add_i32 s22, s23, s22
	v_mul_lo_u32 v7, v8, s10
	s_cmp_ge_i32 s22, s19
	v_cndmask_b32_e64 v8, v11, -1, s25
	s_cselect_b32 s25, -1, 0
	s_clause 0x1
	buffer_load_dword v9, v9, s[12:15], 0 offen
	buffer_load_dword v10, v10, s[12:15], 0 offen
	v_cndmask_b32_e64 v12, 0, 1, s25
	s_and_b32 s25, s25, exec_lo
	s_cselect_b32 s25, s21, s9
	s_cmp_lt_i32 s22, s18
	v_add_nc_u32_e32 v8, s8, v8
	s_cselect_b32 s25, s20, s25
	s_cselect_b32 s26, -1, 0
	s_add_i32 s22, s25, s22
	v_cndmask_b32_e64 v12, v12, -1, s26
	s_cmp_ge_i32 s22, s19
	v_mul_lo_u32 v8, v8, s10
	s_cselect_b32 s26, -1, 0
	v_lshlrev_b32_e32 v11, 2, v0
	v_cndmask_b32_e64 v13, 0, 1, s26
	s_and_b32 s26, s26, exec_lo
	s_cselect_b32 s26, s21, s9
	s_cmp_lt_i32 s22, s18
	v_add3_u32 v0, v7, s24, v0
	s_cselect_b32 s27, -1, 0
	v_add_nc_u32_e32 v12, s8, v12
	v_cndmask_b32_e64 v13, v13, -1, s27
	s_mul_i32 s23, s23, s11
	v_lshlrev_b32_e32 v7, 2, v0
	v_add3_u32 v0, v8, s23, v0
	v_mul_lo_u32 v12, v12, s10
	v_add_nc_u32_e32 v13, s8, v13
	buffer_load_dword v11, v11, s[12:15], 0 offen
	s_mul_i32 s25, s25, s11
	s_cselect_b32 s23, s20, s26
	v_mul_lo_u32 v8, v13, s10
	v_lshlrev_b32_e32 v13, 2, v0
	v_add3_u32 v0, v12, s25, v0
	s_mul_i32 s24, s23, s11
	s_add_i32 s23, s23, s22
	s_clause 0x1
	buffer_load_dword v12, v13, s[12:15], 0 offen
	buffer_load_dword v7, v7, s[12:15], 0 offen
	v_lshlrev_b32_e32 v13, 2, v0
	v_add3_u32 v0, v8, s24, v0
	s_cmp_ge_i32 s23, s19
	s_cselect_b32 s22, -1, 0
	buffer_load_dword v8, v13, s[12:15], 0 offen
	v_lshlrev_b32_e32 v13, 2, v0
	buffer_load_dword v13, v13, s[12:15], 0 offen
	s_waitcnt vmcnt(7)
	v_add_f32_e32 v1, v1, v6
	v_cndmask_b32_e64 v6, 0, 1, s22
	s_and_b32 s22, s22, exec_lo
	s_cselect_b32 s22, s21, s9
	s_cmp_lt_i32 s23, s18
	s_cselect_b32 s24, -1, 0
	s_cselect_b32 s22, s20, s22
	v_cndmask_b32_e64 v6, v6, -1, s24
	s_mul_i32 s24, s22, s11
	s_add_i32 s6, s6, 8
	s_add_i32 s22, s22, s23
	s_cmp_ge_i32 s6, s7
	v_add_nc_u32_e32 v6, s8, v6
	v_mul_lo_u32 v6, v6, s10
	v_add3_u32 v0, v6, s24, v0
	s_waitcnt vmcnt(6)
	v_add_f32_e32 v1, v1, v9
	s_waitcnt vmcnt(5)
	v_add_f32_e32 v1, v1, v10
	;; [unrolled: 2-line block ×4, first 2 shown]
	v_add_f32_e32 v1, v1, v12
	s_waitcnt vmcnt(1)
	v_add_f32_e32 v1, v1, v8
	s_waitcnt vmcnt(0)
	v_add_f32_e32 v1, v1, v13
	s_cbranch_scc0 .LBB1_5
; %bb.6:
	v_mov_b32_e32 v0, v4
.LBB1_7:
	s_clause 0x1
	s_load_dword s7, s[16:17], 0x818
	s_load_dword s6, s[16:17], 0x828
	s_waitcnt lgkmcnt(0)
	s_abs_i32 s8, s7
	v_cvt_f32_u32_e32 v4, s8
	s_sub_i32 s9, 0, s8
	v_rcp_iflag_f32_e32 v4, v4
	v_mul_f32_e32 v4, 0x4f7ffffe, v4
	v_cvt_u32_f32_e32 v4, v4
	v_mul_lo_u32 v6, s9, v4
	s_ashr_i32 s9, s7, 31
	v_xor_b32_e32 v0, s9, v0
	v_mul_hi_u32 v6, v4, v6
	v_add_nc_u32_e32 v6, v4, v6
	v_mul_hi_u32 v4, v3, v6
	v_mad_u64_u32 v[4:5], null, v5, v6, v[4:5]
	v_mul_lo_u32 v5, v4, s8
	v_sub_nc_u32_e32 v3, v3, v5
	v_add_nc_u32_e32 v5, 1, v4
	v_subrev_nc_u32_e32 v6, s8, v3
	v_cmp_le_u32_e32 vcc_lo, s8, v3
	v_cndmask_b32_e32 v4, v4, v5, vcc_lo
	v_cndmask_b32_e32 v3, v3, v6, vcc_lo
	v_add_nc_u32_e32 v5, 1, v4
	v_cmp_le_u32_e32 vcc_lo, s8, v3
	s_clause 0x1
	s_load_dword s8, s[4:5], 0x8
	s_load_dword s4, s[4:5], 0x18
	v_cndmask_b32_e32 v3, v4, v5, vcc_lo
	v_xor_b32_e32 v3, v3, v0
	v_sub_nc_u32_e32 v0, v3, v0
	s_waitcnt lgkmcnt(0)
	v_cmp_eq_f32_e64 vcc_lo, s8, 1.0
	v_mul_lo_u32 v3, v0, s7
	v_sub_nc_u32_e32 v2, v2, v3
	v_mul_lo_u32 v3, v0, s2
	v_mul_f32_e32 v0, s8, v1
	s_lshl_b32 s2, s6, 2
	v_mul_lo_u32 v2, v2, s3
	v_cmp_neq_f32_e64 s3, s4, 0
	v_cndmask_b32_e32 v0, v0, v1, vcc_lo
	s_and_b32 vcc_lo, exec_lo, s3
	s_mov_b32 s3, 0x20000
	v_add_lshl_u32 v1, v2, v3, 2
	s_cbranch_vccz .LBB1_9
; %bb.8:
	buffer_load_dword v2, v1, s[0:3], 0 offen
	s_waitcnt vmcnt(0)
	v_fmac_f32_e32 v0, s4, v2
.LBB1_9:
	buffer_store_dword v0, v1, s[0:3], 0 offen
	s_endpgm
	.section	.rodata,"a",@progbits
	.p2align	6, 0x0
	.amdhsa_kernel gridwise_generic_reduce_1
		.amdhsa_group_segment_fixed_size 0
		.amdhsa_private_segment_fixed_size 0
		.amdhsa_kernarg_size 64
		.amdhsa_user_sgpr_count 6
		.amdhsa_user_sgpr_private_segment_buffer 1
		.amdhsa_user_sgpr_dispatch_ptr 0
		.amdhsa_user_sgpr_queue_ptr 0
		.amdhsa_user_sgpr_kernarg_segment_ptr 1
		.amdhsa_user_sgpr_dispatch_id 0
		.amdhsa_user_sgpr_flat_scratch_init 0
		.amdhsa_user_sgpr_private_segment_size 0
		.amdhsa_wavefront_size32 1
		.amdhsa_uses_dynamic_stack 0
		.amdhsa_system_sgpr_private_segment_wavefront_offset 0
		.amdhsa_system_sgpr_workgroup_id_x 1
		.amdhsa_system_sgpr_workgroup_id_y 0
		.amdhsa_system_sgpr_workgroup_id_z 0
		.amdhsa_system_sgpr_workgroup_info 0
		.amdhsa_system_vgpr_workitem_id 0
		.amdhsa_next_free_vgpr 14
		.amdhsa_next_free_sgpr 28
		.amdhsa_reserve_vcc 1
		.amdhsa_reserve_flat_scratch 0
		.amdhsa_float_round_mode_32 0
		.amdhsa_float_round_mode_16_64 0
		.amdhsa_float_denorm_mode_32 3
		.amdhsa_float_denorm_mode_16_64 3
		.amdhsa_dx10_clamp 1
		.amdhsa_ieee_mode 1
		.amdhsa_fp16_overflow 0
		.amdhsa_workgroup_processor_mode 1
		.amdhsa_memory_ordered 1
		.amdhsa_forward_progress 1
		.amdhsa_shared_vgpr_count 0
		.amdhsa_exception_fp_ieee_invalid_op 0
		.amdhsa_exception_fp_denorm_src 0
		.amdhsa_exception_fp_ieee_div_zero 0
		.amdhsa_exception_fp_ieee_overflow 0
		.amdhsa_exception_fp_ieee_underflow 0
		.amdhsa_exception_fp_ieee_inexact 0
		.amdhsa_exception_int_div_zero 0
	.end_amdhsa_kernel
	.text
.Lfunc_end1:
	.size	gridwise_generic_reduce_1, .Lfunc_end1-gridwise_generic_reduce_1
                                        ; -- End function
	.set gridwise_generic_reduce_1.num_vgpr, 14
	.set gridwise_generic_reduce_1.num_agpr, 0
	.set gridwise_generic_reduce_1.numbered_sgpr, 28
	.set gridwise_generic_reduce_1.num_named_barrier, 0
	.set gridwise_generic_reduce_1.private_seg_size, 0
	.set gridwise_generic_reduce_1.uses_vcc, 1
	.set gridwise_generic_reduce_1.uses_flat_scratch, 0
	.set gridwise_generic_reduce_1.has_dyn_sized_stack, 0
	.set gridwise_generic_reduce_1.has_recursion, 0
	.set gridwise_generic_reduce_1.has_indirect_call, 0
	.section	.AMDGPU.csdata,"",@progbits
; Kernel info:
; codeLenInByte = 1400
; TotalNumSgprs: 30
; NumVgprs: 14
; ScratchSize: 0
; MemoryBound: 0
; FloatMode: 240
; IeeeMode: 1
; LDSByteSize: 0 bytes/workgroup (compile time only)
; SGPRBlocks: 0
; VGPRBlocks: 1
; NumSGPRsForWavesPerEU: 30
; NumVGPRsForWavesPerEU: 14
; Occupancy: 16
; WaveLimiterHint : 1
; COMPUTE_PGM_RSRC2:SCRATCH_EN: 0
; COMPUTE_PGM_RSRC2:USER_SGPR: 6
; COMPUTE_PGM_RSRC2:TRAP_HANDLER: 0
; COMPUTE_PGM_RSRC2:TGID_X_EN: 1
; COMPUTE_PGM_RSRC2:TGID_Y_EN: 0
; COMPUTE_PGM_RSRC2:TGID_Z_EN: 0
; COMPUTE_PGM_RSRC2:TIDIG_COMP_CNT: 0
	.text
	.p2alignl 6, 3214868480
	.fill 48, 4, 3214868480
	.section	.AMDGPU.gpr_maximums,"",@progbits
	.set amdgpu.max_num_vgpr, 0
	.set amdgpu.max_num_agpr, 0
	.set amdgpu.max_num_sgpr, 0
	.text
	.type	__hip_cuid_dc378f268ae75062,@object ; @__hip_cuid_dc378f268ae75062
	.section	.bss,"aw",@nobits
	.globl	__hip_cuid_dc378f268ae75062
__hip_cuid_dc378f268ae75062:
	.byte	0                               ; 0x0
	.size	__hip_cuid_dc378f268ae75062, 1

	.ident	"AMD clang version 22.0.0git (https://github.com/RadeonOpenCompute/llvm-project roc-7.2.4 26084 f58b06dce1f9c15707c5f808fd002e18c2accf7e)"
	.section	".note.GNU-stack","",@progbits
	.addrsig
	.addrsig_sym __hip_cuid_dc378f268ae75062
	.amdgpu_metadata
---
amdhsa.kernels:
  - .args:
      - .offset:         0
        .size:           4
        .value_kind:     by_value
      - .offset:         4
        .size:           4
        .value_kind:     by_value
      - .offset:         8
        .size:           4
        .value_kind:     by_value
      - .offset:         12
        .size:           4
        .value_kind:     by_value
      - .offset:         16
        .size:           4
        .value_kind:     by_value
      - .offset:         20
        .size:           4
        .value_kind:     by_value
      - .offset:         24
        .size:           4
        .value_kind:     by_value
      - .offset:         28
        .size:           4
        .value_kind:     by_value
      - .offset:         32
        .size:           4
        .value_kind:     by_value
      - .offset:         36
        .size:           4
        .value_kind:     by_value
      - .offset:         40
        .size:           4
        .value_kind:     by_value
      - .offset:         44
        .size:           4
        .value_kind:     by_value
      - .offset:         48
        .size:           4
        .value_kind:     by_value
      - .offset:         52
        .size:           4
        .value_kind:     by_value
      - .offset:         56
        .size:           4
        .value_kind:     by_value
      - .offset:         60
        .size:           4
        .value_kind:     by_value
      - .offset:         64
        .size:           4
        .value_kind:     by_value
      - .offset:         68
        .size:           4
        .value_kind:     by_value
      - .offset:         72
        .size:           4
        .value_kind:     by_value
      - .offset:         76
        .size:           4
        .value_kind:     by_value
      - .actual_access:  write_only
        .address_space:  global
        .offset:         80
        .size:           8
        .value_kind:     global_buffer
    .group_segment_fixed_size: 0
    .kernarg_segment_align: 8
    .kernarg_segment_size: 88
    .language:       OpenCL C
    .language_version:
      - 2
      - 0
    .max_flat_workgroup_size: 1024
    .name:           gridwise_generic_reduce_1_prepare
    .private_segment_fixed_size: 0
    .sgpr_count:     23
    .sgpr_spill_count: 0
    .symbol:         gridwise_generic_reduce_1_prepare.kd
    .uniform_work_group_size: 1
    .uses_dynamic_stack: false
    .vgpr_count:     16
    .vgpr_spill_count: 0
    .wavefront_size: 32
    .workgroup_processor_mode: 1
  - .args:
      - .offset:         0
        .size:           4
        .value_kind:     by_value
      - .offset:         4
        .size:           4
        .value_kind:     by_value
      - .offset:         8
        .size:           4
        .value_kind:     by_value
      - .address_space:  global
        .offset:         16
        .size:           8
        .value_kind:     global_buffer
      - .offset:         24
        .size:           4
        .value_kind:     by_value
      - .address_space:  global
        .offset:         32
        .size:           8
        .value_kind:     global_buffer
      - .address_space:  constant
        .offset:         40
        .size:           8
        .value_kind:     global_buffer
      - .offset:         48
        .size:           8
        .value_kind:     by_value
      - .actual_access:  read_only
        .address_space:  global
        .offset:         56
        .size:           8
        .value_kind:     global_buffer
    .group_segment_fixed_size: 0
    .kernarg_segment_align: 8
    .kernarg_segment_size: 64
    .language:       OpenCL C
    .language_version:
      - 2
      - 0
    .max_flat_workgroup_size: 1024
    .name:           gridwise_generic_reduce_1
    .private_segment_fixed_size: 0
    .sgpr_count:     30
    .sgpr_spill_count: 0
    .symbol:         gridwise_generic_reduce_1.kd
    .uniform_work_group_size: 1
    .uses_dynamic_stack: false
    .vgpr_count:     14
    .vgpr_spill_count: 0
    .wavefront_size: 32
    .workgroup_processor_mode: 1
amdhsa.target:   amdgcn-amd-amdhsa--gfx1030
amdhsa.version:
  - 1
  - 2
...

	.end_amdgpu_metadata
